;; amdgpu-corpus repo=ROCm/rocFFT kind=compiled arch=gfx950 opt=O3
	.text
	.amdgcn_target "amdgcn-amd-amdhsa--gfx950"
	.amdhsa_code_object_version 6
	.protected	fft_rtc_back_len1320_factors_11_2_3_5_4_wgs_165_tpt_165_sp_ip_CI_unitstride_sbrr_R2C_dirReg ; -- Begin function fft_rtc_back_len1320_factors_11_2_3_5_4_wgs_165_tpt_165_sp_ip_CI_unitstride_sbrr_R2C_dirReg
	.globl	fft_rtc_back_len1320_factors_11_2_3_5_4_wgs_165_tpt_165_sp_ip_CI_unitstride_sbrr_R2C_dirReg
	.p2align	8
	.type	fft_rtc_back_len1320_factors_11_2_3_5_4_wgs_165_tpt_165_sp_ip_CI_unitstride_sbrr_R2C_dirReg,@function
fft_rtc_back_len1320_factors_11_2_3_5_4_wgs_165_tpt_165_sp_ip_CI_unitstride_sbrr_R2C_dirReg: ; @fft_rtc_back_len1320_factors_11_2_3_5_4_wgs_165_tpt_165_sp_ip_CI_unitstride_sbrr_R2C_dirReg
; %bb.0:
	s_load_dwordx2 s[8:9], s[0:1], 0x50
	s_load_dwordx4 s[4:7], s[0:1], 0x0
	s_load_dwordx2 s[10:11], s[0:1], 0x18
	v_mul_u32_u24_e32 v1, 0x18e, v0
	v_add_u32_sdwa v6, s2, v1 dst_sel:DWORD dst_unused:UNUSED_PAD src0_sel:DWORD src1_sel:WORD_1
	v_mov_b32_e32 v4, 0
	s_waitcnt lgkmcnt(0)
	v_cmp_lt_u64_e64 s[2:3], s[6:7], 2
	v_mov_b32_e32 v7, v4
	s_and_b64 vcc, exec, s[2:3]
	v_mov_b64_e32 v[2:3], 0
	s_cbranch_vccnz .LBB0_8
; %bb.1:
	s_load_dwordx2 s[2:3], s[0:1], 0x10
	s_add_u32 s12, s10, 8
	s_addc_u32 s13, s11, 0
	s_mov_b64 s[14:15], 1
	v_mov_b64_e32 v[2:3], 0
	s_waitcnt lgkmcnt(0)
	s_add_u32 s16, s2, 8
	s_addc_u32 s17, s3, 0
.LBB0_2:                                ; =>This Inner Loop Header: Depth=1
	s_load_dwordx2 s[18:19], s[16:17], 0x0
                                        ; implicit-def: $vgpr8_vgpr9
	s_waitcnt lgkmcnt(0)
	v_or_b32_e32 v5, s19, v7
	v_cmp_ne_u64_e32 vcc, 0, v[4:5]
	s_and_saveexec_b64 s[2:3], vcc
	s_xor_b64 s[20:21], exec, s[2:3]
	s_cbranch_execz .LBB0_4
; %bb.3:                                ;   in Loop: Header=BB0_2 Depth=1
	v_cvt_f32_u32_e32 v1, s18
	v_cvt_f32_u32_e32 v5, s19
	s_sub_u32 s2, 0, s18
	s_subb_u32 s3, 0, s19
	v_fmac_f32_e32 v1, 0x4f800000, v5
	v_rcp_f32_e32 v1, v1
	s_nop 0
	v_mul_f32_e32 v1, 0x5f7ffffc, v1
	v_mul_f32_e32 v5, 0x2f800000, v1
	v_trunc_f32_e32 v5, v5
	v_fmac_f32_e32 v1, 0xcf800000, v5
	v_cvt_u32_f32_e32 v5, v5
	v_cvt_u32_f32_e32 v1, v1
	v_mul_lo_u32 v8, s2, v5
	v_mul_hi_u32 v10, s2, v1
	v_mul_lo_u32 v9, s3, v1
	v_add_u32_e32 v10, v10, v8
	v_mul_lo_u32 v12, s2, v1
	v_add_u32_e32 v13, v10, v9
	v_mul_hi_u32 v8, v1, v12
	v_mul_hi_u32 v11, v1, v13
	v_mul_lo_u32 v10, v1, v13
	v_mov_b32_e32 v9, v4
	v_lshl_add_u64 v[8:9], v[8:9], 0, v[10:11]
	v_mul_hi_u32 v11, v5, v12
	v_mul_lo_u32 v12, v5, v12
	v_add_co_u32_e32 v8, vcc, v8, v12
	v_mul_hi_u32 v10, v5, v13
	s_nop 0
	v_addc_co_u32_e32 v8, vcc, v9, v11, vcc
	v_mov_b32_e32 v9, v4
	s_nop 0
	v_addc_co_u32_e32 v11, vcc, 0, v10, vcc
	v_mul_lo_u32 v10, v5, v13
	v_lshl_add_u64 v[8:9], v[8:9], 0, v[10:11]
	v_add_co_u32_e32 v1, vcc, v1, v8
	v_mul_lo_u32 v10, s2, v1
	s_nop 0
	v_addc_co_u32_e32 v5, vcc, v5, v9, vcc
	v_mul_lo_u32 v8, s2, v5
	v_mul_hi_u32 v9, s2, v1
	v_add_u32_e32 v8, v9, v8
	v_mul_lo_u32 v9, s3, v1
	v_add_u32_e32 v12, v8, v9
	v_mul_hi_u32 v14, v5, v10
	v_mul_lo_u32 v15, v5, v10
	v_mul_hi_u32 v9, v1, v12
	v_mul_lo_u32 v8, v1, v12
	v_mul_hi_u32 v10, v1, v10
	v_mov_b32_e32 v11, v4
	v_lshl_add_u64 v[8:9], v[10:11], 0, v[8:9]
	v_add_co_u32_e32 v8, vcc, v8, v15
	v_mul_hi_u32 v13, v5, v12
	s_nop 0
	v_addc_co_u32_e32 v8, vcc, v9, v14, vcc
	v_mul_lo_u32 v10, v5, v12
	s_nop 0
	v_addc_co_u32_e32 v11, vcc, 0, v13, vcc
	v_mov_b32_e32 v9, v4
	v_lshl_add_u64 v[8:9], v[8:9], 0, v[10:11]
	v_add_co_u32_e32 v1, vcc, v1, v8
	v_mul_hi_u32 v10, v6, v1
	s_nop 0
	v_addc_co_u32_e32 v5, vcc, v5, v9, vcc
	v_mad_u64_u32 v[8:9], s[2:3], v6, v5, 0
	v_mov_b32_e32 v11, v4
	v_lshl_add_u64 v[8:9], v[10:11], 0, v[8:9]
	v_mad_u64_u32 v[12:13], s[2:3], v7, v1, 0
	v_add_co_u32_e32 v1, vcc, v8, v12
	v_mad_u64_u32 v[10:11], s[2:3], v7, v5, 0
	s_nop 0
	v_addc_co_u32_e32 v8, vcc, v9, v13, vcc
	v_mov_b32_e32 v9, v4
	s_nop 0
	v_addc_co_u32_e32 v11, vcc, 0, v11, vcc
	v_lshl_add_u64 v[8:9], v[8:9], 0, v[10:11]
	v_mul_lo_u32 v1, s19, v8
	v_mul_lo_u32 v5, s18, v9
	v_mad_u64_u32 v[10:11], s[2:3], s18, v8, 0
	v_add3_u32 v1, v11, v5, v1
	v_sub_u32_e32 v5, v7, v1
	v_mov_b32_e32 v11, s19
	v_sub_co_u32_e32 v14, vcc, v6, v10
	v_lshl_add_u64 v[12:13], v[8:9], 0, 1
	s_nop 0
	v_subb_co_u32_e64 v5, s[2:3], v5, v11, vcc
	v_subrev_co_u32_e64 v10, s[2:3], s18, v14
	v_subb_co_u32_e32 v1, vcc, v7, v1, vcc
	s_nop 0
	v_subbrev_co_u32_e64 v5, s[2:3], 0, v5, s[2:3]
	v_cmp_le_u32_e64 s[2:3], s19, v5
	v_cmp_le_u32_e32 vcc, s19, v1
	s_nop 0
	v_cndmask_b32_e64 v11, 0, -1, s[2:3]
	v_cmp_le_u32_e64 s[2:3], s18, v10
	s_nop 1
	v_cndmask_b32_e64 v10, 0, -1, s[2:3]
	v_cmp_eq_u32_e64 s[2:3], s19, v5
	s_nop 1
	v_cndmask_b32_e64 v5, v11, v10, s[2:3]
	v_lshl_add_u64 v[10:11], v[8:9], 0, 2
	v_cmp_ne_u32_e64 s[2:3], 0, v5
	s_nop 1
	v_cndmask_b32_e64 v5, v13, v11, s[2:3]
	v_cndmask_b32_e64 v11, 0, -1, vcc
	v_cmp_le_u32_e32 vcc, s18, v14
	s_nop 1
	v_cndmask_b32_e64 v13, 0, -1, vcc
	v_cmp_eq_u32_e32 vcc, s19, v1
	s_nop 1
	v_cndmask_b32_e32 v1, v11, v13, vcc
	v_cmp_ne_u32_e32 vcc, 0, v1
	v_cndmask_b32_e64 v1, v12, v10, s[2:3]
	s_nop 0
	v_cndmask_b32_e32 v9, v9, v5, vcc
	v_cndmask_b32_e32 v8, v8, v1, vcc
.LBB0_4:                                ;   in Loop: Header=BB0_2 Depth=1
	s_andn2_saveexec_b64 s[2:3], s[20:21]
	s_cbranch_execz .LBB0_6
; %bb.5:                                ;   in Loop: Header=BB0_2 Depth=1
	v_cvt_f32_u32_e32 v1, s18
	s_sub_i32 s20, 0, s18
	v_rcp_iflag_f32_e32 v1, v1
	s_nop 0
	v_mul_f32_e32 v1, 0x4f7ffffe, v1
	v_cvt_u32_f32_e32 v1, v1
	v_mul_lo_u32 v5, s20, v1
	v_mul_hi_u32 v5, v1, v5
	v_add_u32_e32 v1, v1, v5
	v_mul_hi_u32 v1, v6, v1
	v_mul_lo_u32 v5, v1, s18
	v_sub_u32_e32 v5, v6, v5
	v_add_u32_e32 v8, 1, v1
	v_subrev_u32_e32 v9, s18, v5
	v_cmp_le_u32_e32 vcc, s18, v5
	s_nop 1
	v_cndmask_b32_e32 v5, v5, v9, vcc
	v_cndmask_b32_e32 v1, v1, v8, vcc
	v_add_u32_e32 v8, 1, v1
	v_cmp_le_u32_e32 vcc, s18, v5
	v_mov_b32_e32 v9, v4
	s_nop 0
	v_cndmask_b32_e32 v8, v1, v8, vcc
.LBB0_6:                                ;   in Loop: Header=BB0_2 Depth=1
	s_or_b64 exec, exec, s[2:3]
	v_mad_u64_u32 v[10:11], s[2:3], v8, s18, 0
	s_load_dwordx2 s[2:3], s[12:13], 0x0
	v_mul_lo_u32 v1, v9, s18
	v_mul_lo_u32 v5, v8, s19
	v_add3_u32 v1, v11, v5, v1
	v_sub_co_u32_e32 v5, vcc, v6, v10
	s_add_u32 s14, s14, 1
	s_nop 0
	v_subb_co_u32_e32 v1, vcc, v7, v1, vcc
	s_addc_u32 s15, s15, 0
	s_waitcnt lgkmcnt(0)
	v_mul_lo_u32 v1, s2, v1
	v_mul_lo_u32 v6, s3, v5
	v_mad_u64_u32 v[2:3], s[2:3], s2, v5, v[2:3]
	s_add_u32 s12, s12, 8
	v_add3_u32 v3, v6, v3, v1
	s_addc_u32 s13, s13, 0
	v_mov_b64_e32 v[6:7], s[6:7]
	s_add_u32 s16, s16, 8
	v_cmp_ge_u64_e32 vcc, s[14:15], v[6:7]
	s_addc_u32 s17, s17, 0
	s_cbranch_vccnz .LBB0_9
; %bb.7:                                ;   in Loop: Header=BB0_2 Depth=1
	v_mov_b64_e32 v[6:7], v[8:9]
	s_branch .LBB0_2
.LBB0_8:
	v_mov_b64_e32 v[8:9], v[6:7]
.LBB0_9:
	s_lshl_b64 s[2:3], s[6:7], 3
	s_add_u32 s2, s10, s2
	s_addc_u32 s3, s11, s3
	s_load_dwordx2 s[6:7], s[2:3], 0x0
	s_load_dwordx2 s[10:11], s[0:1], 0x20
	s_mov_b32 s2, 0x18d3019
	s_waitcnt lgkmcnt(0)
	v_mul_lo_u32 v1, s6, v9
	v_mul_lo_u32 v4, s7, v8
	v_mad_u64_u32 v[2:3], s[0:1], s6, v8, v[2:3]
	v_add3_u32 v3, v4, v3, v1
	v_mul_hi_u32 v1, v0, s2
	v_mul_u32_u24_e32 v1, 0xa5, v1
	v_sub_u32_e32 v22, v0, v1
	v_cmp_gt_u64_e64 s[0:1], s[10:11], v[8:9]
	v_lshl_add_u64 v[20:21], v[2:3], 3, s[8:9]
	v_lshl_add_u32 v100, v22, 3, 0
	s_and_saveexec_b64 s[2:3], s[0:1]
	s_cbranch_execz .LBB0_11
; %bb.10:
	v_mov_b32_e32 v23, 0
	v_lshl_add_u64 v[0:1], v[22:23], 3, v[20:21]
	v_add_co_u32_e32 v10, vcc, 0x1000, v0
	global_load_dwordx2 v[2:3], v[0:1], off
	global_load_dwordx2 v[4:5], v[0:1], off offset:1320
	global_load_dwordx2 v[6:7], v[0:1], off offset:2640
	;; [unrolled: 1-line block ×3, first 2 shown]
	v_addc_co_u32_e32 v11, vcc, 0, v1, vcc
	v_add_co_u32_e32 v0, vcc, 0x2000, v0
	s_nop 1
	v_addc_co_u32_e32 v1, vcc, 0, v1, vcc
	global_load_dwordx2 v[12:13], v[10:11], off offset:1184
	global_load_dwordx2 v[14:15], v[10:11], off offset:2504
	;; [unrolled: 1-line block ×4, first 2 shown]
	v_add_u32_e32 v0, 0x800, v100
	v_add_u32_e32 v1, 0x1400, v100
	s_waitcnt vmcnt(6)
	ds_write2_b64 v100, v[2:3], v[4:5] offset1:165
	s_waitcnt vmcnt(4)
	ds_write2_b64 v0, v[6:7], v[8:9] offset0:74 offset1:239
	s_waitcnt vmcnt(2)
	ds_write2_b64 v1, v[12:13], v[14:15] offset0:20 offset1:185
	v_add_u32_e32 v0, 0x1e00, v100
	s_waitcnt vmcnt(0)
	ds_write2_b64 v0, v[16:17], v[18:19] offset0:30 offset1:195
.LBB0_11:
	s_or_b64 exec, exec, s[2:3]
	v_add_u32_e32 v4, 0x400, v100
	s_waitcnt lgkmcnt(0)
	s_barrier
	ds_read2_b64 v[0:3], v100 offset1:120
	ds_read2_b64 v[4:7], v4 offset0:112 offset1:232
	ds_read_b64 v[62:63], v100 offset:9600
	v_add_u32_e32 v8, 0x1c00, v100
	ds_read2_b64 v[8:11], v8 offset0:64 offset1:184
	s_mov_b32 s2, 0x3ed4b147
	s_mov_b32 s3, 0xbf68dda4
	s_waitcnt lgkmcnt(1)
	v_pk_add_f32 v[32:33], v[62:63], v[2:3]
	v_pk_add_f32 v[34:35], v[2:3], v[62:63] neg_lo:[0,1] neg_hi:[0,1]
	v_mov_b32_e32 v27, v33
	v_mov_b32_e32 v26, v35
	s_mov_b32 s6, s3
	s_mov_b32 s7, s2
	v_pk_mul_f32 v[54:55], v[26:27], s[6:7]
	s_mov_b32 s6, 0xbf27a4f4
	s_waitcnt lgkmcnt(0)
	v_pk_add_f32 v[30:31], v[10:11], v[4:5]
	v_pk_add_f32 v[36:37], v[4:5], v[10:11] neg_lo:[0,1] neg_hi:[0,1]
	s_mov_b32 s7, 0xbf4178ce
	v_mov_b32_e32 v48, v32
	v_mov_b32_e32 v49, v34
	;; [unrolled: 1-line block ×4, first 2 shown]
	s_mov_b32 s12, s7
	s_mov_b32 s13, s6
	v_pk_fma_f32 v[50:51], v[48:49], s[2:3], v[54:55]
	v_pk_fma_f32 v[12:13], v[48:49], s[2:3], v[54:55] neg_lo:[0,0,1] neg_hi:[0,0,1]
	v_pk_mul_f32 v[56:57], v[84:85], s[12:13]
	v_mov_b32_e32 v52, v30
	v_mov_b32_e32 v53, v36
	;; [unrolled: 1-line block ×3, first 2 shown]
	v_pk_fma_f32 v[60:61], v[52:53], s[6:7], v[56:57]
	v_pk_fma_f32 v[14:15], v[52:53], s[6:7], v[56:57] neg_lo:[0,0,1] neg_hi:[0,0,1]
	v_add_u32_e32 v16, 0x1400, v100
	v_pk_add_f32 v[12:13], v[0:1], v[12:13]
	v_mov_b32_e32 v15, v61
	v_add_u32_e32 v23, 0xc00, v100
	v_pk_add_f32 v[28:29], v[8:9], v[6:7]
	v_pk_add_f32 v[38:39], v[6:7], v[8:9] neg_lo:[0,1] neg_hi:[0,1]
	v_pk_add_f32 v[24:25], v[14:15], v[12:13]
	s_mov_b32 s8, 0xbf75a155
	ds_read2_b64 v[12:15], v16 offset0:80 offset1:200
	ds_read2_b64 v[16:19], v23 offset0:96 offset1:216
	v_mov_b32_e32 v88, v39
	v_mov_b32_e32 v89, v29
	s_mov_b32 s16, 0x3e903f40
	s_mov_b32 s17, s8
	v_pk_mul_f32 v[64:65], v[88:89], s[16:17]
	v_mov_b32_e32 v58, v28
	v_mov_b32_e32 v59, v38
	s_mov_b32 s9, s16
	v_pk_fma_f32 v[66:67], v[58:59], s[8:9], v[64:65]
	v_pk_fma_f32 v[40:41], v[58:59], s[8:9], v[64:65] neg_lo:[0,0,1] neg_hi:[0,0,1]
	s_mov_b32 s10, 0xbe11bafb
	v_mov_b32_e32 v41, v67
	v_pk_add_f32 v[24:25], v[40:41], v[24:25]
	s_waitcnt lgkmcnt(0)
	v_pk_add_f32 v[40:41], v[14:15], v[16:17]
	v_pk_add_f32 v[44:45], v[16:17], v[14:15] neg_lo:[0,1] neg_hi:[0,1]
	s_mov_b32 s11, 0x3f7d64f0
	v_mov_b32_e32 v92, v45
	v_mov_b32_e32 v93, v41
	s_mov_b32 s14, s11
	s_mov_b32 s15, s10
	v_mov_b32_e32 v68, v40
	v_mov_b32_e32 v69, v44
	v_pk_mul_f32 v[72:73], v[92:93], s[14:15]
	s_mov_b32 s14, 0x3f575c64
	v_pk_fma_f32 v[70:71], v[68:69], s[10:11], v[72:73]
	v_pk_fma_f32 v[42:43], v[68:69], s[10:11], v[72:73] neg_lo:[0,0,1] neg_hi:[0,0,1]
	v_pk_add_f32 v[46:47], v[18:19], v[12:13] neg_lo:[0,1] neg_hi:[0,1]
	v_mov_b32_e32 v43, v71
	v_pk_add_f32 v[24:25], v[42:43], v[24:25]
	v_pk_add_f32 v[42:43], v[12:13], v[18:19]
	s_mov_b32 s15, 0x3f0a6770
	v_mov_b32_e32 v96, v47
	v_mov_b32_e32 v97, v43
	s_mov_b32 s18, s15
	s_mov_b32 s19, s14
	v_mov_b32_e32 v78, v42
	v_mov_b32_e32 v79, v46
	v_pk_mul_f32 v[74:75], v[96:97], s[18:19]
	s_mov_b32 s19, 0xbf7d64f0
	v_pk_fma_f32 v[76:77], v[78:79], s[14:15], v[74:75]
	v_pk_fma_f32 v[80:81], v[78:79], s[14:15], v[74:75] neg_lo:[0,0,1] neg_hi:[0,0,1]
	s_mov_b32 s20, s19
	v_mov_b32_e32 v81, v77
	s_mov_b32 s21, s10
	v_pk_add_f32 v[24:25], v[80:81], v[24:25]
	v_pk_mul_f32 v[80:81], v[26:27], s[20:21]
	s_mov_b32 s18, s10
	v_pk_fma_f32 v[26:27], v[48:49], s[18:19], v[80:81] neg_lo:[0,0,1] neg_hi:[0,0,1]
	v_pk_fma_f32 v[82:83], v[48:49], s[18:19], v[80:81]
	v_pk_mul_f32 v[86:87], v[84:85], s[16:17]
	s_mov_b32 s17, 0x3f68dda4
	v_mov_b32_e32 v27, v83
	v_pk_fma_f32 v[90:91], v[52:53], s[8:9], v[86:87] neg_lo:[0,0,1] neg_hi:[0,0,1]
	v_pk_fma_f32 v[84:85], v[52:53], s[8:9], v[86:87]
	s_mov_b32 s20, s17
	s_mov_b32 s21, s2
	v_mov_b32_e32 v91, v85
	v_pk_add_f32 v[26:27], v[0:1], v[26:27]
	v_pk_mul_f32 v[88:89], v[88:89], s[20:21]
	s_mov_b32 s16, s2
	s_mov_b32 s21, 0xbf0a6770
	v_pk_add_f32 v[26:27], v[90:91], v[26:27]
	v_pk_fma_f32 v[94:95], v[58:59], s[16:17], v[88:89] neg_lo:[0,0,1] neg_hi:[0,0,1]
	v_pk_fma_f32 v[90:91], v[58:59], s[16:17], v[88:89]
	s_mov_b32 s22, s21
	s_mov_b32 s23, s14
	v_mov_b32_e32 v95, v91
	v_pk_mul_f32 v[92:93], v[92:93], s[22:23]
	s_mov_b32 s20, s14
	v_pk_add_f32 v[26:27], v[94:95], v[26:27]
	v_pk_fma_f32 v[98:99], v[68:69], s[20:21], v[92:93] neg_lo:[0,0,1] neg_hi:[0,0,1]
	v_pk_fma_f32 v[94:95], v[68:69], s[20:21], v[92:93]
	s_nop 0
	v_mov_b32_e32 v99, v95
	v_pk_add_f32 v[26:27], v[98:99], v[26:27]
	v_pk_mul_f32 v[98:99], v[96:97], s[12:13]
	s_movk_i32 s12, 0x78
	v_pk_fma_f32 v[102:103], v[78:79], s[6:7], v[98:99] neg_lo:[0,0,1] neg_hi:[0,0,1]
	v_pk_fma_f32 v[96:97], v[78:79], s[6:7], v[98:99]
	v_cmp_gt_u32_e32 vcc, s12, v22
	v_mov_b32_e32 v103, v97
	v_pk_add_f32 v[26:27], v[102:103], v[26:27]
	s_barrier
	s_and_saveexec_b64 s[12:13], vcc
	s_cbranch_execz .LBB0_13
; %bb.12:
	v_pk_add_f32 v[2:3], v[0:1], v[2:3]
	s_mov_b32 s24, s21
	v_pk_add_f32 v[2:3], v[2:3], v[4:5]
	v_pk_mul_f32 v[4:5], v[34:35], s[24:25] op_sel_hi:[1,0]
	v_pk_add_f32 v[2:3], v[2:3], v[6:7]
	s_mov_b32 s22, s3
	v_pk_add_f32 v[2:3], v[2:3], v[16:17]
	v_pk_mul_f32 v[6:7], v[36:37], s[22:23] op_sel_hi:[1,0]
	v_pk_add_f32 v[2:3], v[2:3], v[18:19]
	s_mov_b32 s22, s19
	v_pk_add_f32 v[2:3], v[2:3], v[12:13]
	v_pk_fma_f32 v[12:13], v[30:31], s[2:3], v[6:7] op_sel:[0,0,1] op_sel_hi:[1,0,0]
	v_pk_add_f32 v[2:3], v[2:3], v[14:15]
	v_pk_fma_f32 v[6:7], v[30:31], s[2:3], v[6:7] op_sel:[0,0,1] op_sel_hi:[1,0,0] neg_lo:[0,0,1] neg_hi:[0,0,1]
	v_pk_add_f32 v[2:3], v[2:3], v[8:9]
	v_pk_fma_f32 v[8:9], v[32:33], s[14:15], v[4:5] op_sel:[0,0,1] op_sel_hi:[1,0,0]
	v_pk_fma_f32 v[4:5], v[32:33], s[14:15], v[4:5] op_sel:[0,0,1] op_sel_hi:[1,0,0] neg_lo:[0,0,1] neg_hi:[0,0,1]
	v_pk_add_f32 v[2:3], v[2:3], v[10:11]
	v_mov_b32_e32 v10, v8
	v_mov_b32_e32 v11, v5
	v_pk_add_f32 v[10:11], v[0:1], v[10:11]
	v_mov_b32_e32 v14, v12
	v_mov_b32_e32 v15, v7
	v_pk_add_f32 v[10:11], v[14:15], v[10:11]
	v_pk_mul_f32 v[14:15], v[38:39], s[22:23] op_sel_hi:[1,0]
	s_mov_b32 s26, s7
	v_pk_fma_f32 v[16:17], v[28:29], s[10:11], v[14:15] op_sel:[0,0,1] op_sel_hi:[1,0,0]
	v_pk_fma_f32 v[14:15], v[28:29], s[10:11], v[14:15] op_sel:[0,0,1] op_sel_hi:[1,0,0] neg_lo:[0,0,1] neg_hi:[0,0,1]
	v_mov_b32_e32 v18, v16
	v_mov_b32_e32 v19, v15
	v_pk_add_f32 v[10:11], v[18:19], v[10:11]
	v_pk_mul_f32 v[18:19], v[44:45], s[26:27] op_sel_hi:[1,0]
	v_pk_add_f32 v[2:3], v[2:3], v[62:63]
	v_pk_fma_f32 v[62:63], v[40:41], s[6:7], v[18:19] op_sel:[0,0,1] op_sel_hi:[1,0,0]
	v_pk_fma_f32 v[18:19], v[40:41], s[6:7], v[18:19] op_sel:[0,0,1] op_sel_hi:[1,0,0] neg_lo:[0,0,1] neg_hi:[0,0,1]
	v_mov_b32_e32 v102, v62
	v_mov_b32_e32 v103, v19
	s_mov_b32 s28, 0xbe903f40
	v_pk_add_f32 v[10:11], v[102:103], v[10:11]
	v_pk_mul_f32 v[102:103], v[46:47], s[28:29] op_sel_hi:[1,0]
	s_movk_i32 s23, 0x50
	v_pk_fma_f32 v[104:105], v[42:43], s[8:9], v[102:103] op_sel:[0,0,1] op_sel_hi:[1,0,0]
	v_pk_fma_f32 v[102:103], v[42:43], s[8:9], v[102:103] op_sel:[0,0,1] op_sel_hi:[1,0,0] neg_lo:[0,0,1] neg_hi:[0,0,1]
	v_mov_b32_e32 v106, v104
	v_mov_b32_e32 v107, v103
	v_pk_add_f32 v[10:11], v[106:107], v[10:11]
	v_mad_u32_u24 v8, v22, s23, v100
	ds_write2_b64 v8, v[2:3], v[10:11] offset1:1
	v_pk_mul_f32 v[10:11], v[58:59], s[8:9]
	v_pk_mul_f32 v[2:3], v[48:49], s[2:3]
	v_pk_add_f32 v[10:11], v[64:65], v[10:11] neg_lo:[0,1] neg_hi:[0,1]
	v_pk_add_f32 v[2:3], v[54:55], v[2:3] neg_lo:[0,1] neg_hi:[0,1]
	v_mov_b32_e32 v67, v11
	v_pk_mul_f32 v[10:11], v[68:69], s[10:11]
	v_mov_b32_e32 v51, v3
	v_pk_add_f32 v[10:11], v[72:73], v[10:11] neg_lo:[0,1] neg_hi:[0,1]
	v_pk_mul_f32 v[2:3], v[52:53], s[6:7]
	v_mov_b32_e32 v71, v11
	v_pk_mul_f32 v[10:11], v[78:79], s[14:15]
	v_pk_add_f32 v[2:3], v[56:57], v[2:3] neg_lo:[0,1] neg_hi:[0,1]
	v_pk_mul_f32 v[48:49], v[48:49], s[18:19]
	v_pk_add_f32 v[10:11], v[74:75], v[10:11] neg_lo:[0,1] neg_hi:[0,1]
	v_mov_b32_e32 v61, v3
	v_pk_add_f32 v[2:3], v[0:1], v[50:51]
	v_pk_mul_f32 v[50:51], v[52:53], s[8:9]
	v_mov_b32_e32 v77, v11
	v_pk_add_f32 v[10:11], v[80:81], v[48:49] neg_lo:[0,1] neg_hi:[0,1]
	v_pk_mul_f32 v[52:53], v[58:59], s[16:17]
	v_mov_b32_e32 v83, v11
	v_pk_add_f32 v[48:49], v[86:87], v[50:51] neg_lo:[0,1] neg_hi:[0,1]
	v_pk_mul_f32 v[54:55], v[68:69], s[20:21]
	v_pk_add_f32 v[10:11], v[0:1], v[82:83]
	v_mov_b32_e32 v85, v49
	v_pk_add_f32 v[48:49], v[88:89], v[52:53] neg_lo:[0,1] neg_hi:[0,1]
	v_pk_add_f32 v[2:3], v[60:61], v[2:3]
	v_pk_mul_f32 v[56:57], v[78:79], s[6:7]
	v_pk_add_f32 v[10:11], v[84:85], v[10:11]
	v_mov_b32_e32 v91, v49
	v_pk_add_f32 v[48:49], v[92:93], v[54:55] neg_lo:[0,1] neg_hi:[0,1]
	v_pk_add_f32 v[2:3], v[66:67], v[2:3]
	v_pk_add_f32 v[10:11], v[90:91], v[10:11]
	v_mov_b32_e32 v95, v49
	v_pk_add_f32 v[48:49], v[98:99], v[56:57] neg_lo:[0,1] neg_hi:[0,1]
	v_pk_add_f32 v[2:3], v[70:71], v[2:3]
	v_pk_add_f32 v[10:11], v[94:95], v[10:11]
	v_mov_b32_e32 v97, v49
	v_pk_add_f32 v[2:3], v[76:77], v[2:3]
	v_pk_add_f32 v[10:11], v[96:97], v[10:11]
	ds_write2_b64 v8, v[2:3], v[10:11] offset0:2 offset1:3
	v_pk_mul_f32 v[2:3], v[34:35], s[26:27] op_sel_hi:[1,0]
	s_mov_b32 s16, s11
	v_pk_fma_f32 v[10:11], v[32:33], s[6:7], v[2:3] op_sel:[0,0,1] op_sel_hi:[1,0,0]
	v_pk_fma_f32 v[2:3], v[32:33], s[6:7], v[2:3] op_sel:[0,0,1] op_sel_hi:[1,0,0] neg_lo:[0,0,1] neg_hi:[0,0,1]
	v_pk_mul_f32 v[50:51], v[36:37], s[16:17] op_sel_hi:[1,0]
	v_mov_b32_e32 v48, v10
	v_mov_b32_e32 v49, v3
	v_pk_fma_f32 v[52:53], v[30:31], s[10:11], v[50:51] op_sel:[0,0,1] op_sel_hi:[1,0,0]
	v_pk_fma_f32 v[50:51], v[30:31], s[10:11], v[50:51] op_sel:[0,0,1] op_sel_hi:[1,0,0] neg_lo:[0,0,1] neg_hi:[0,0,1]
	v_pk_add_f32 v[48:49], v[0:1], v[48:49]
	v_mov_b32_e32 v54, v52
	v_mov_b32_e32 v55, v51
	v_pk_add_f32 v[48:49], v[54:55], v[48:49]
	v_pk_mul_f32 v[54:55], v[38:39], s[24:25] op_sel_hi:[1,0]
	s_mov_b32 s16, s17
	v_pk_fma_f32 v[56:57], v[28:29], s[14:15], v[54:55] op_sel:[0,0,1] op_sel_hi:[1,0,0]
	v_pk_fma_f32 v[54:55], v[28:29], s[14:15], v[54:55] op_sel:[0,0,1] op_sel_hi:[1,0,0] neg_lo:[0,0,1] neg_hi:[0,0,1]
	v_mov_b32_e32 v58, v56
	v_mov_b32_e32 v59, v55
	v_pk_add_f32 v[48:49], v[58:59], v[48:49]
	v_pk_mul_f32 v[58:59], v[44:45], s[28:29] op_sel_hi:[1,0]
	v_pk_mul_f32 v[34:35], v[34:35], s[28:29] op_sel_hi:[1,0]
	v_pk_fma_f32 v[60:61], v[40:41], s[8:9], v[58:59] op_sel:[0,0,1] op_sel_hi:[1,0,0]
	v_pk_fma_f32 v[58:59], v[40:41], s[8:9], v[58:59] op_sel:[0,0,1] op_sel_hi:[1,0,0] neg_lo:[0,0,1] neg_hi:[0,0,1]
	v_mov_b32_e32 v64, v60
	v_mov_b32_e32 v65, v59
	v_pk_add_f32 v[48:49], v[64:65], v[48:49]
	v_pk_mul_f32 v[64:65], v[46:47], s[16:17] op_sel_hi:[1,0]
	s_mov_b32 s18, s15
	v_pk_fma_f32 v[66:67], v[42:43], s[2:3], v[64:65] op_sel:[0,0,1] op_sel_hi:[1,0,0]
	v_pk_fma_f32 v[64:65], v[42:43], s[2:3], v[64:65] op_sel:[0,0,1] op_sel_hi:[1,0,0] neg_lo:[0,0,1] neg_hi:[0,0,1]
	v_mov_b32_e32 v68, v66
	v_mov_b32_e32 v69, v65
	v_pk_add_f32 v[48:49], v[68:69], v[48:49]
	v_pk_mul_f32 v[36:37], v[36:37], s[18:19] op_sel_hi:[1,0]
	v_pk_fma_f32 v[68:69], v[32:33], s[8:9], v[34:35] op_sel:[0,0,1] op_sel_hi:[1,0,0]
	v_pk_fma_f32 v[32:33], v[32:33], s[8:9], v[34:35] op_sel:[0,0,1] op_sel_hi:[1,0,0] neg_lo:[0,0,1] neg_hi:[0,0,1]
	v_mov_b32_e32 v34, v68
	v_mov_b32_e32 v35, v33
	v_pk_fma_f32 v[70:71], v[30:31], s[14:15], v[36:37] op_sel:[0,0,1] op_sel_hi:[1,0,0]
	v_pk_fma_f32 v[30:31], v[30:31], s[14:15], v[36:37] op_sel:[0,0,1] op_sel_hi:[1,0,0] neg_lo:[0,0,1] neg_hi:[0,0,1]
	v_pk_mul_f32 v[38:39], v[38:39], s[26:27] op_sel_hi:[1,0]
	v_pk_add_f32 v[34:35], v[0:1], v[34:35]
	v_mov_b32_e32 v36, v70
	v_mov_b32_e32 v37, v31
	v_pk_add_f32 v[34:35], v[36:37], v[34:35]
	v_pk_fma_f32 v[36:37], v[28:29], s[6:7], v[38:39] op_sel:[0,0,1] op_sel_hi:[1,0,0]
	v_pk_fma_f32 v[28:29], v[28:29], s[6:7], v[38:39] op_sel:[0,0,1] op_sel_hi:[1,0,0] neg_lo:[0,0,1] neg_hi:[0,0,1]
	v_pk_mul_f32 v[44:45], v[44:45], s[16:17] op_sel_hi:[1,0]
	v_mov_b32_e32 v38, v36
	v_mov_b32_e32 v39, v29
	;; [unrolled: 1-line block ×5, first 2 shown]
	v_pk_add_f32 v[34:35], v[38:39], v[34:35]
	v_pk_fma_f32 v[38:39], v[40:41], s[2:3], v[44:45] op_sel:[0,0,1] op_sel_hi:[1,0,0]
	v_pk_fma_f32 v[40:41], v[40:41], s[2:3], v[44:45] op_sel:[0,0,1] op_sel_hi:[1,0,0] neg_lo:[0,0,1] neg_hi:[0,0,1]
	v_pk_add_f32 v[32:33], v[0:1], v[32:33]
	v_mov_b32_e32 v31, v71
	v_pk_add_f32 v[2:3], v[0:1], v[2:3]
	v_mov_b32_e32 v51, v53
	;; [unrolled: 2-line block ×3, first 2 shown]
	v_pk_mul_f32 v[46:47], v[46:47], s[22:23] op_sel_hi:[1,0]
	v_mov_b32_e32 v44, v38
	v_mov_b32_e32 v45, v41
	v_pk_add_f32 v[30:31], v[30:31], v[32:33]
	v_mov_b32_e32 v29, v37
	v_pk_add_f32 v[2:3], v[50:51], v[2:3]
	v_mov_b32_e32 v55, v57
	v_pk_add_f32 v[0:1], v[6:7], v[0:1]
	v_mov_b32_e32 v15, v17
	v_pk_add_f32 v[34:35], v[44:45], v[34:35]
	v_pk_fma_f32 v[44:45], v[42:43], s[10:11], v[46:47] op_sel:[0,0,1] op_sel_hi:[1,0,0]
	v_pk_fma_f32 v[42:43], v[42:43], s[10:11], v[46:47] op_sel:[0,0,1] op_sel_hi:[1,0,0] neg_lo:[0,0,1] neg_hi:[0,0,1]
	v_pk_add_f32 v[28:29], v[28:29], v[30:31]
	v_mov_b32_e32 v41, v39
	v_pk_add_f32 v[2:3], v[54:55], v[2:3]
	v_mov_b32_e32 v59, v61
	;; [unrolled: 2-line block ×3, first 2 shown]
	v_mov_b32_e32 v46, v44
	v_mov_b32_e32 v47, v43
	v_pk_add_f32 v[28:29], v[40:41], v[28:29]
	v_mov_b32_e32 v43, v45
	v_pk_add_f32 v[2:3], v[58:59], v[2:3]
	;; [unrolled: 2-line block ×4, first 2 shown]
	v_pk_add_f32 v[28:29], v[42:43], v[28:29]
	v_pk_add_f32 v[2:3], v[64:65], v[2:3]
	;; [unrolled: 1-line block ×3, first 2 shown]
	ds_write2_b64 v8, v[48:49], v[34:35] offset0:4 offset1:5
	ds_write2_b64 v8, v[28:29], v[2:3] offset0:6 offset1:7
	;; [unrolled: 1-line block ×3, first 2 shown]
	ds_write_b64 v8, v[0:1] offset:80
.LBB0_13:
	s_or_b64 exec, exec, s[12:13]
	v_add_u32_e32 v0, 0x1ef, v22
	s_mov_b32 s2, 0xba2f
	v_mul_u32_u24_sdwa v1, v0, s2 dst_sel:DWORD dst_unused:UNUSED_PAD src0_sel:WORD_0 src1_sel:DWORD
	v_add_u32_e32 v10, 0xa5, v22
	v_lshrrev_b32_e32 v31, 19, v1
	v_add_u32_e32 v8, 0x14a, v22
	v_mul_lo_u16_e32 v1, 11, v31
	v_mul_u32_u24_sdwa v30, v10, s2 dst_sel:DWORD dst_unused:UNUSED_PAD src0_sel:WORD_0 src1_sel:DWORD
	v_sub_u16_e32 v0, v0, v1
	v_lshrrev_b32_e32 v41, 19, v30
	v_mul_u32_u24_sdwa v11, v8, s2 dst_sel:DWORD dst_unused:UNUSED_PAD src0_sel:WORD_0 src1_sel:DWORD
	v_lshlrev_b32_e32 v40, 3, v0
	v_mul_lo_u16_e32 v0, 11, v41
	v_lshrrev_b32_e32 v42, 19, v11
	v_sub_u16_e32 v0, v10, v0
	v_mul_lo_u16_e32 v1, 11, v42
	s_movk_i32 s2, 0x75
	v_sub_u16_e32 v1, v8, v1
	v_lshlrev_b32_e32 v43, 3, v0
	v_mul_lo_u16_sdwa v0, v22, s2 dst_sel:DWORD dst_unused:UNUSED_PAD src0_sel:BYTE_0 src1_sel:DWORD
	v_lshlrev_b32_e32 v44, 3, v1
	v_sub_u16_sdwa v1, v22, v0 dst_sel:DWORD dst_unused:UNUSED_PAD src0_sel:DWORD src1_sel:BYTE_1
	v_lshrrev_b16_e32 v1, 1, v1
	v_and_b32_e32 v1, 0x7f, v1
	v_add_u16_sdwa v0, v1, v0 dst_sel:DWORD dst_unused:UNUSED_PAD src0_sel:DWORD src1_sel:BYTE_1
	v_lshrrev_b16_e32 v45, 3, v0
	s_waitcnt lgkmcnt(0)
	s_barrier
	global_load_dwordx2 v[12:13], v40, s[4:5]
	v_mul_lo_u16_e32 v0, 11, v45
	global_load_dwordx2 v[14:15], v44, s[4:5]
	global_load_dwordx2 v[16:17], v43, s[4:5]
	v_sub_u16_e32 v0, v22, v0
	v_mov_b32_e32 v9, 3
	v_lshlrev_b32_sdwa v46, v9, v0 dst_sel:DWORD dst_unused:UNUSED_PAD src0_sel:DWORD src1_sel:BYTE_0
	global_load_dwordx2 v[18:19], v46, s[4:5]
	v_add_u32_e32 v4, 0x1800, v100
	ds_read_b64 v[32:33], v100 offset:9240
	ds_read_b64 v[34:35], v100
	ds_read2_b64 v[4:7], v4 offset0:57 offset1:222
	s_mov_b32 s3, 0x5040100
	v_add_u32_e32 v0, 0xe00, v100
	s_movk_i32 s2, 0xb0
	v_perm_b32 v41, v42, v41, s3
	ds_read2_b64 v[0:3], v0 offset0:47 offset1:212
	v_lshl_add_u32 v28, v8, 3, 0
	v_mul_u32_u24_e32 v31, 0xb0, v31
	v_pk_mul_lo_u16 v41, v41, s2 op_sel_hi:[1,0]
	v_lshl_add_u32 v29, v10, 3, 0
	ds_read_b64 v[36:37], v28
	ds_read_b64 v[38:39], v29
	v_and_b32_e32 v42, 0xfff0, v41
	v_lshrrev_b32_e32 v41, 16, v41
	v_add3_u32 v31, 0, v31, v40
	v_mul_u32_u24_e32 v40, 0xb0, v45
	v_add3_u32 v49, 0, v42, v43
	v_add3_u32 v50, 0, v41, v44
	;; [unrolled: 1-line block ×3, first 2 shown]
	v_add_u32_e32 v48, 0x1a00, v100
	s_waitcnt lgkmcnt(0)
	s_barrier
	s_movk_i32 s2, 0x6e
	v_cmp_gt_u32_e32 vcc, s2, v22
	s_waitcnt vmcnt(3)
	v_pk_mul_f32 v[40:41], v[12:13], v[32:33] op_sel:[0,1]
	s_waitcnt vmcnt(2)
	v_pk_mul_f32 v[42:43], v[14:15], v[6:7] op_sel:[0,1]
	;; [unrolled: 2-line block ×3, first 2 shown]
	v_pk_fma_f32 v[46:47], v[12:13], v[32:33], v[40:41] op_sel:[0,0,1] op_sel_hi:[1,1,0]
	v_pk_fma_f32 v[12:13], v[12:13], v[32:33], v[40:41] op_sel:[0,0,1] op_sel_hi:[1,0,0] neg_lo:[1,0,0] neg_hi:[1,0,0]
	v_pk_fma_f32 v[32:33], v[14:15], v[6:7], v[42:43] op_sel:[0,0,1] op_sel_hi:[1,1,0]
	v_pk_fma_f32 v[6:7], v[14:15], v[6:7], v[42:43] op_sel:[0,0,1] op_sel_hi:[1,0,0] neg_lo:[1,0,0] neg_hi:[1,0,0]
	;; [unrolled: 2-line block ×3, first 2 shown]
	v_mov_b32_e32 v47, v13
	v_mov_b32_e32 v33, v7
	;; [unrolled: 1-line block ×3, first 2 shown]
	v_pk_add_f32 v[16:17], v[0:1], v[46:47] neg_lo:[0,1] neg_hi:[0,1]
	v_pk_add_f32 v[4:5], v[36:37], v[32:33] neg_lo:[0,1] neg_hi:[0,1]
	s_waitcnt vmcnt(0)
	v_pk_mul_f32 v[32:33], v[18:19], v[2:3] op_sel:[0,1]
	v_pk_add_f32 v[6:7], v[38:39], v[14:15] neg_lo:[0,1] neg_hi:[0,1]
	v_pk_fma_f32 v[14:15], v[0:1], 2.0, v[16:17] op_sel_hi:[1,0,1] neg_lo:[0,0,1] neg_hi:[0,0,1]
	v_pk_fma_f32 v[0:1], v[36:37], 2.0, v[4:5] op_sel_hi:[1,0,1] neg_lo:[0,0,1] neg_hi:[0,0,1]
	v_pk_fma_f32 v[36:37], v[18:19], v[2:3], v[32:33] op_sel:[0,0,1] op_sel_hi:[1,1,0]
	v_pk_fma_f32 v[2:3], v[18:19], v[2:3], v[32:33] op_sel:[0,0,1] op_sel_hi:[1,0,0] neg_lo:[1,0,0] neg_hi:[1,0,0]
	v_pk_fma_f32 v[12:13], v[38:39], 2.0, v[6:7] op_sel_hi:[1,0,1] neg_lo:[0,0,1] neg_hi:[0,0,1]
	v_mov_b32_e32 v37, v3
	v_pk_add_f32 v[2:3], v[34:35], v[36:37] neg_lo:[0,1] neg_hi:[0,1]
	s_nop 0
	v_pk_fma_f32 v[18:19], v[34:35], 2.0, v[2:3] op_sel_hi:[1,0,1] neg_lo:[0,0,1] neg_hi:[0,0,1]
	ds_write2_b64 v51, v[18:19], v[2:3] offset1:11
	ds_write2_b64 v49, v[12:13], v[6:7] offset1:11
	;; [unrolled: 1-line block ×4, first 2 shown]
	s_waitcnt lgkmcnt(0)
	s_barrier
	ds_read2_b64 v[4:7], v23 offset0:56 offset1:221
	ds_read2_b64 v[0:3], v48 offset0:48 offset1:213
	ds_read_b64 v[12:13], v100
	ds_read_b64 v[18:19], v29
	s_and_saveexec_b64 s[2:3], vcc
	s_cbranch_execz .LBB0_15
; %bb.14:
	ds_read_b64 v[14:15], v28
	ds_read_b64 v[16:17], v100 offset:6160
	ds_read_b64 v[26:27], v100 offset:9680
.LBB0_15:
	s_or_b64 exec, exec, s[2:3]
	v_lshrrev_b16_e32 v38, 1, v22
	v_and_b32_e32 v38, 0x7f, v38
	v_mul_lo_u16_e32 v38, 0xbb, v38
	v_lshrrev_b32_e32 v43, 20, v30
	v_lshrrev_b16_e32 v47, 11, v38
	v_mul_lo_u16_e32 v23, 22, v43
	v_mul_lo_u16_e32 v38, 22, v47
	v_sub_u16_e32 v45, v10, v23
	v_mov_b32_e32 v39, 4
	v_sub_u16_e32 v49, v22, v38
	v_lshlrev_b32_e32 v23, 4, v45
	v_lshrrev_b32_e32 v11, 20, v11
	v_lshlrev_b32_sdwa v38, v39, v49 dst_sel:DWORD dst_unused:UNUSED_PAD src0_sel:DWORD src1_sel:BYTE_0
	global_load_dwordx4 v[30:33], v23, s[4:5] offset:88
	s_waitcnt lgkmcnt(1)
	v_mov_b32_e32 v46, v17
	global_load_dwordx4 v[38:41], v38, s[4:5] offset:88
	v_mul_lo_u16_e32 v23, 22, v11
	v_sub_u16_e32 v23, v8, v23
	v_lshlrev_b32_e32 v34, 4, v23
	global_load_dwordx4 v[34:37], v34, s[4:5] offset:88
	s_waitcnt lgkmcnt(0)
	v_mov_b32_e32 v48, v27
	v_mov_b32_e32 v42, v7
	;; [unrolled: 1-line block ×3, first 2 shown]
	v_mul_u32_u24_e32 v17, 0x210, v43
	v_lshlrev_b32_e32 v43, 3, v45
	v_mul_u32_u24_e32 v45, 0x210, v47
	v_lshlrev_b32_sdwa v9, v9, v49 dst_sel:DWORD dst_unused:UNUSED_PAD src0_sel:DWORD src1_sel:BYTE_0
	v_add3_u32 v54, 0, v17, v43
	s_mov_b32 s2, 0x3f5db3d7
	v_add3_u32 v9, 0, v45, v9
	s_barrier
	s_waitcnt vmcnt(2)
	v_pk_mul_f32 v[50:51], v[30:31], v[6:7] op_sel_hi:[1,0]
	v_mov_b32_e32 v52, v33
	v_mov_b32_e32 v53, v32
	v_pk_mul_f32 v[32:33], v[32:33], v[2:3] op_sel_hi:[1,0]
	v_pk_fma_f32 v[42:43], v[30:31], v[42:43], v[50:51] op_sel:[1,0,0] op_sel_hi:[0,1,1]
	v_pk_fma_f32 v[6:7], v[30:31], v[6:7], v[50:51] op_sel:[1,1,0] op_sel_hi:[0,1,1] neg_lo:[0,0,1] neg_hi:[0,0,1]
	s_waitcnt vmcnt(0)
	v_pk_mul_f32 v[46:47], v[46:47], v[34:35] op_sel_hi:[0,1]
	v_pk_mul_f32 v[48:49], v[48:49], v[36:37] op_sel_hi:[0,1]
	v_pk_fma_f32 v[30:31], v[52:53], v[44:45], v[32:33]
	v_pk_fma_f32 v[2:3], v[52:53], v[2:3], v[32:33] op_sel:[0,1,0] neg_lo:[0,0,1] neg_hi:[0,0,1]
	v_pk_fma_f32 v[32:33], v[16:17], v[34:35], v[46:47] op_sel:[0,0,1] op_sel_hi:[1,1,0]
	v_pk_fma_f32 v[16:17], v[16:17], v[34:35], v[46:47] op_sel:[0,0,1] op_sel_hi:[0,1,0] neg_lo:[1,0,0] neg_hi:[1,0,0]
	v_pk_fma_f32 v[34:35], v[26:27], v[36:37], v[48:49] op_sel:[0,0,1] op_sel_hi:[1,1,0]
	v_pk_fma_f32 v[26:27], v[26:27], v[36:37], v[48:49] op_sel:[0,0,1] op_sel_hi:[0,1,0] neg_lo:[1,0,0] neg_hi:[1,0,0]
	v_mov_b32_e32 v43, v7
	v_mov_b32_e32 v31, v3
	;; [unrolled: 1-line block ×4, first 2 shown]
	v_pk_add_f32 v[2:3], v[42:43], v[30:31]
	v_pk_add_f32 v[16:17], v[14:15], v[32:33]
	;; [unrolled: 1-line block ×3, first 2 shown]
	v_pk_add_f32 v[32:33], v[32:33], v[34:35] neg_lo:[0,1] neg_hi:[0,1]
	v_pk_mul_f32 v[36:37], v[38:39], v[4:5] op_sel:[0,1]
	v_pk_mul_f32 v[44:45], v[40:41], v[0:1] op_sel:[0,1]
	v_pk_add_f32 v[6:7], v[42:43], v[30:31] neg_lo:[0,1] neg_hi:[0,1]
	v_pk_add_f32 v[42:43], v[18:19], v[42:43]
	v_pk_fma_f32 v[18:19], v[2:3], 0.5, v[18:19] op_sel_hi:[1,0,1] neg_lo:[1,0,0] neg_hi:[1,0,0]
	v_pk_add_f32 v[2:3], v[16:17], v[34:35]
	v_pk_fma_f32 v[14:15], v[26:27], 0.5, v[14:15] op_sel_hi:[1,0,1] neg_lo:[1,0,0] neg_hi:[1,0,0]
	v_pk_mul_f32 v[16:17], v[32:33], s[2:3] op_sel_hi:[1,0]
	v_pk_fma_f32 v[26:27], v[38:39], v[4:5], v[36:37] op_sel:[0,0,1] op_sel_hi:[1,1,0]
	v_pk_fma_f32 v[32:33], v[38:39], v[4:5], v[36:37] op_sel:[0,0,1] op_sel_hi:[1,0,0] neg_lo:[1,0,0] neg_hi:[1,0,0]
	v_pk_fma_f32 v[34:35], v[40:41], v[0:1], v[44:45] op_sel:[0,0,1] op_sel_hi:[1,1,0]
	v_pk_fma_f32 v[0:1], v[40:41], v[0:1], v[44:45] op_sel:[0,0,1] op_sel_hi:[1,0,0] neg_lo:[1,0,0] neg_hi:[1,0,0]
	v_pk_mul_f32 v[6:7], v[6:7], s[2:3] op_sel_hi:[1,0]
	v_mov_b32_e32 v27, v33
	v_mov_b32_e32 v35, v1
	v_pk_add_f32 v[36:37], v[18:19], v[6:7] op_sel:[0,1] op_sel_hi:[1,0]
	v_pk_add_f32 v[18:19], v[18:19], v[6:7] op_sel:[0,1] op_sel_hi:[1,0] neg_lo:[0,1] neg_hi:[0,1]
	v_pk_add_f32 v[4:5], v[14:15], v[16:17] op_sel:[0,1] op_sel_hi:[1,0] neg_lo:[0,1] neg_hi:[0,1]
	v_pk_add_f32 v[6:7], v[14:15], v[16:17] op_sel:[0,1] op_sel_hi:[1,0]
	v_pk_add_f32 v[14:15], v[26:27], v[12:13]
	v_pk_add_f32 v[16:17], v[26:27], v[34:35]
	v_pk_add_f32 v[26:27], v[26:27], v[34:35] neg_lo:[0,1] neg_hi:[0,1]
	v_pk_fma_f32 v[12:13], v[16:17], 0.5, v[12:13] op_sel_hi:[1,0,1] neg_lo:[1,0,0] neg_hi:[1,0,0]
	v_pk_mul_f32 v[16:17], v[26:27], s[2:3] op_sel_hi:[1,0]
	v_mov_b32_e32 v0, v36
	v_pk_add_f32 v[26:27], v[12:13], v[16:17] op_sel:[0,1] op_sel_hi:[1,0] neg_lo:[0,1] neg_hi:[0,1]
	v_pk_add_f32 v[12:13], v[12:13], v[16:17] op_sel:[0,1] op_sel_hi:[1,0]
	v_mov_b32_e32 v1, v19
	v_pk_add_f32 v[14:15], v[14:15], v[34:35]
	v_mov_b32_e32 v16, v26
	v_mov_b32_e32 v17, v13
	v_pk_add_f32 v[30:31], v[42:43], v[30:31]
	v_mov_b32_e32 v19, v37
	v_mov_b32_e32 v13, v27
	ds_write2_b64 v9, v[14:15], v[16:17] offset1:22
	ds_write_b64 v9, v[12:13] offset:352
	ds_write2_b64 v54, v[30:31], v[18:19] offset1:22
	ds_write_b64 v54, v[0:1] offset:352
	s_and_saveexec_b64 s[2:3], vcc
	s_cbranch_execz .LBB0_17
; %bb.16:
	v_mul_lo_u16_e32 v9, 0x42, v11
	v_lshlrev_b32_e32 v11, 3, v23
	v_lshlrev_b32_e32 v9, 3, v9
	v_add3_u32 v9, 0, v11, v9
	v_mov_b32_e32 v12, v4
	v_mov_b32_e32 v13, v7
	ds_write2_b64 v9, v[2:3], v[12:13] offset1:22
	v_mov_b32_e32 v12, v6
	v_mov_b32_e32 v13, v5
	ds_write_b64 v9, v[12:13] offset:352
.LBB0_17:
	s_or_b64 exec, exec, s[2:3]
	s_waitcnt lgkmcnt(0)
	s_barrier
	ds_read_b64 v[12:13], v100
	ds_read_b64 v[26:27], v100 offset:2112
	ds_read_b64 v[18:19], v100 offset:4224
	;; [unrolled: 1-line block ×4, first 2 shown]
	s_movk_i32 s2, 0x63
	v_cmp_gt_u32_e32 vcc, s2, v22
	s_and_saveexec_b64 s[2:3], vcc
	s_cbranch_execz .LBB0_19
; %bb.18:
	ds_read_b64 v[30:31], v100 offset:5544
	ds_read_b64 v[4:5], v100 offset:7656
	ds_read_b64 v[0:1], v29
	ds_read_b64 v[2:3], v100 offset:3432
	ds_read_b64 v[24:25], v100 offset:9768
	s_waitcnt lgkmcnt(4)
	v_mov_b32_e32 v7, v31
	s_waitcnt lgkmcnt(3)
	v_mov_b32_e32 v6, v4
	v_mov_b32_e32 v4, v30
.LBB0_19:
	s_or_b64 exec, exec, s[2:3]
	s_movk_i32 s2, 0xf9
	v_mul_lo_u16_sdwa v9, v22, s2 dst_sel:DWORD dst_unused:UNUSED_PAD src0_sel:BYTE_0 src1_sel:DWORD
	v_lshrrev_b16_e32 v9, 14, v9
	v_mul_lo_u16_e32 v11, 0x42, v9
	v_sub_u16_e32 v11, v22, v11
	v_mov_b32_e32 v23, 5
	v_lshlrev_b32_sdwa v23, v23, v11 dst_sel:DWORD dst_unused:UNUSED_PAD src0_sel:DWORD src1_sel:BYTE_0
	global_load_dwordx4 v[30:33], v23, s[4:5] offset:440
	global_load_dwordx4 v[34:37], v23, s[4:5] offset:456
	s_mov_b32 s6, 0x3f737871
	s_mov_b32 s8, 0x3f167918
	v_mov_b32_e32 v23, 3
	s_mov_b32 s2, 0x3e9e377a
	v_mul_u32_u24_e32 v9, 0xa50, v9
	v_lshlrev_b32_sdwa v11, v23, v11 dst_sel:DWORD dst_unused:UNUSED_PAD src0_sel:DWORD src1_sel:BYTE_0
	v_add3_u32 v9, 0, v9, v11
	s_waitcnt lgkmcnt(0)
	s_barrier
	s_waitcnt vmcnt(1)
	v_pk_mul_f32 v[38:39], v[30:31], v[26:27] op_sel:[0,1]
	v_pk_mul_f32 v[40:41], v[32:33], v[18:19] op_sel:[0,1]
	s_waitcnt vmcnt(0)
	v_pk_mul_f32 v[42:43], v[34:35], v[16:17] op_sel:[0,1]
	v_pk_mul_f32 v[44:45], v[36:37], v[14:15] op_sel:[0,1]
	v_pk_fma_f32 v[46:47], v[30:31], v[26:27], v[38:39] op_sel:[0,0,1] op_sel_hi:[1,1,0]
	v_pk_fma_f32 v[26:27], v[30:31], v[26:27], v[38:39] op_sel:[0,0,1] op_sel_hi:[1,0,0] neg_lo:[1,0,0] neg_hi:[1,0,0]
	v_pk_fma_f32 v[30:31], v[32:33], v[18:19], v[40:41] op_sel:[0,0,1] op_sel_hi:[1,1,0]
	v_pk_fma_f32 v[18:19], v[32:33], v[18:19], v[40:41] op_sel:[0,0,1] op_sel_hi:[1,0,0] neg_lo:[1,0,0] neg_hi:[1,0,0]
	;; [unrolled: 2-line block ×4, first 2 shown]
	v_mov_b32_e32 v47, v27
	v_mov_b32_e32 v31, v19
	;; [unrolled: 1-line block ×4, first 2 shown]
	v_pk_add_f32 v[14:15], v[12:13], v[46:47]
	v_pk_add_f32 v[16:17], v[30:31], v[32:33]
	v_pk_add_f32 v[18:19], v[46:47], v[34:35] neg_lo:[0,1] neg_hi:[0,1]
	v_pk_add_f32 v[26:27], v[30:31], v[32:33] neg_lo:[0,1] neg_hi:[0,1]
	;; [unrolled: 1-line block ×3, first 2 shown]
	v_pk_add_f32 v[40:41], v[46:47], v[34:35]
	v_pk_add_f32 v[42:43], v[30:31], v[46:47] neg_lo:[0,1] neg_hi:[0,1]
	v_pk_add_f32 v[14:15], v[14:15], v[30:31]
	v_pk_fma_f32 v[16:17], v[16:17], 0.5, v[12:13] op_sel_hi:[1,0,1] neg_lo:[1,0,0] neg_hi:[1,0,0]
	v_pk_mul_f32 v[30:31], v[18:19], s[6:7] op_sel_hi:[1,0]
	v_pk_add_f32 v[38:39], v[34:35], v[32:33] neg_lo:[0,1] neg_hi:[0,1]
	v_pk_add_f32 v[44:45], v[32:33], v[34:35] neg_lo:[0,1] neg_hi:[0,1]
	v_pk_mul_f32 v[46:47], v[26:27], s[8:9] op_sel_hi:[1,0]
	v_pk_fma_f32 v[12:13], v[40:41], 0.5, v[12:13] op_sel_hi:[1,0,1] neg_lo:[1,0,0] neg_hi:[1,0,0]
	v_pk_mul_f32 v[26:27], v[26:27], s[6:7] op_sel_hi:[1,0]
	v_pk_add_f32 v[14:15], v[14:15], v[32:33]
	v_pk_add_f32 v[32:33], v[16:17], v[30:31] op_sel:[0,1] op_sel_hi:[1,0] neg_lo:[0,1] neg_hi:[0,1]
	v_pk_add_f32 v[16:17], v[16:17], v[30:31] op_sel:[0,1] op_sel_hi:[1,0]
	v_pk_mul_f32 v[18:19], v[18:19], s[8:9] op_sel_hi:[1,0]
	v_pk_add_f32 v[30:31], v[12:13], v[26:27] op_sel:[0,1] op_sel_hi:[1,0]
	v_pk_add_f32 v[12:13], v[12:13], v[26:27] op_sel:[0,1] op_sel_hi:[1,0] neg_lo:[0,1] neg_hi:[0,1]
	v_pk_add_f32 v[16:17], v[16:17], v[46:47] op_sel:[0,1] op_sel_hi:[1,0]
	v_pk_add_f32 v[26:27], v[32:33], v[46:47] op_sel:[0,1] op_sel_hi:[1,0] neg_lo:[0,1] neg_hi:[0,1]
	v_pk_add_f32 v[36:37], v[36:37], v[38:39]
	v_pk_add_f32 v[12:13], v[12:13], v[18:19] op_sel:[0,1] op_sel_hi:[1,0]
	v_pk_add_f32 v[18:19], v[30:31], v[18:19] op_sel:[0,1] op_sel_hi:[1,0] neg_lo:[0,1] neg_hi:[0,1]
	v_mov_b32_e32 v30, v26
	v_mov_b32_e32 v31, v17
	v_pk_add_f32 v[38:39], v[42:43], v[44:45]
	v_pk_add_f32 v[14:15], v[14:15], v[34:35]
	v_mov_b32_e32 v32, v18
	v_mov_b32_e32 v33, v13
	;; [unrolled: 1-line block ×4, first 2 shown]
	v_pk_fma_f32 v[18:19], v[36:37], s[2:3], v[30:31] op_sel_hi:[1,0,1]
	v_pk_fma_f32 v[26:27], v[38:39], s[2:3], v[32:33] op_sel_hi:[1,0,1]
	;; [unrolled: 1-line block ×4, first 2 shown]
	ds_write2_b64 v9, v[14:15], v[18:19] offset1:66
	ds_write2_b64 v9, v[26:27], v[12:13] offset0:132 offset1:198
	ds_write_b64 v9, v[16:17] offset:2112
	s_and_saveexec_b64 s[10:11], vcc
	s_cbranch_execz .LBB0_21
; %bb.20:
	s_mov_b32 s3, 0xf83f
	v_mul_u32_u24_sdwa v9, v10, s3 dst_sel:DWORD dst_unused:UNUSED_PAD src0_sel:WORD_0 src1_sel:DWORD
	v_lshrrev_b32_e32 v9, 22, v9
	v_mul_lo_u16_e32 v11, 0x42, v9
	v_sub_u16_e32 v11, v10, v11
	v_lshlrev_b32_e32 v23, 5, v11
	global_load_dwordx4 v[12:15], v23, s[4:5] offset:440
	global_load_dwordx4 v[16:19], v23, s[4:5] offset:456
	v_mov_b32_e32 v26, v3
	v_mov_b32_e32 v30, v7
	;; [unrolled: 1-line block ×3, first 2 shown]
	v_mul_lo_u16_e32 v3, 0x14a, v9
	v_lshlrev_b32_e32 v3, 3, v3
	v_lshlrev_b32_e32 v5, 3, v11
	v_add3_u32 v9, 0, v5, v3
	s_waitcnt vmcnt(1)
	v_pk_mul_f32 v[26:27], v[26:27], v[12:13] op_sel_hi:[0,1]
	v_pk_mul_f32 v[30:31], v[30:31], v[14:15] op_sel_hi:[0,1]
	s_waitcnt vmcnt(0)
	v_pk_mul_f32 v[34:35], v[24:25], v[18:19] op_sel:[1,0]
	v_pk_mul_f32 v[32:33], v[32:33], v[16:17] op_sel_hi:[0,1]
	v_pk_fma_f32 v[36:37], v[4:5], v[14:15], v[30:31] op_sel:[0,0,1] op_sel_hi:[1,1,0]
	v_pk_fma_f32 v[4:5], v[4:5], v[14:15], v[30:31] op_sel:[0,0,1] op_sel_hi:[0,1,0] neg_lo:[1,0,0] neg_hi:[1,0,0]
	v_pk_fma_f32 v[14:15], v[2:3], v[12:13], v[26:27] op_sel:[0,0,1] op_sel_hi:[1,1,0]
	v_pk_fma_f32 v[2:3], v[2:3], v[12:13], v[26:27] op_sel:[0,0,1] op_sel_hi:[0,1,0] neg_lo:[1,0,0] neg_hi:[1,0,0]
	;; [unrolled: 2-line block ×4, first 2 shown]
	v_mov_b32_e32 v37, v5
	v_mov_b32_e32 v15, v3
	;; [unrolled: 1-line block ×4, first 2 shown]
	v_pk_add_f32 v[2:3], v[0:1], v[14:15]
	v_pk_add_f32 v[4:5], v[14:15], v[36:37] neg_lo:[0,1] neg_hi:[0,1]
	v_pk_add_f32 v[6:7], v[16:17], v[12:13] neg_lo:[0,1] neg_hi:[0,1]
	v_pk_add_f32 v[18:19], v[36:37], v[12:13]
	v_pk_add_f32 v[24:25], v[14:15], v[16:17] neg_lo:[0,1] neg_hi:[0,1]
	v_pk_add_f32 v[26:27], v[36:37], v[12:13] neg_lo:[0,1] neg_hi:[0,1]
	;; [unrolled: 1-line block ×3, first 2 shown]
	v_pk_add_f32 v[14:15], v[14:15], v[16:17]
	v_pk_add_f32 v[2:3], v[2:3], v[36:37]
	;; [unrolled: 1-line block ×3, first 2 shown]
	v_pk_fma_f32 v[6:7], v[18:19], 0.5, v[0:1] op_sel_hi:[1,0,1] neg_lo:[1,0,0] neg_hi:[1,0,0]
	v_pk_mul_f32 v[18:19], v[24:25], s[6:7] op_sel_hi:[1,0]
	v_pk_add_f32 v[32:33], v[12:13], v[16:17] neg_lo:[0,1] neg_hi:[0,1]
	v_pk_mul_f32 v[34:35], v[26:27], s[8:9] op_sel_hi:[1,0]
	v_pk_fma_f32 v[0:1], v[14:15], 0.5, v[0:1] op_sel_hi:[1,0,1] neg_lo:[1,0,0] neg_hi:[1,0,0]
	v_pk_mul_f32 v[14:15], v[26:27], s[6:7] op_sel_hi:[1,0]
	v_pk_add_f32 v[2:3], v[2:3], v[12:13]
	v_pk_add_f32 v[12:13], v[6:7], v[18:19] op_sel:[0,1] op_sel_hi:[1,0] neg_lo:[0,1] neg_hi:[0,1]
	v_pk_add_f32 v[6:7], v[6:7], v[18:19] op_sel:[0,1] op_sel_hi:[1,0]
	v_pk_mul_f32 v[24:25], v[24:25], s[8:9] op_sel_hi:[1,0]
	v_pk_add_f32 v[18:19], v[0:1], v[14:15] op_sel:[0,1] op_sel_hi:[1,0]
	v_pk_add_f32 v[0:1], v[0:1], v[14:15] op_sel:[0,1] op_sel_hi:[1,0] neg_lo:[0,1] neg_hi:[0,1]
	v_pk_add_f32 v[6:7], v[6:7], v[34:35] op_sel:[0,1] op_sel_hi:[1,0]
	v_pk_add_f32 v[12:13], v[12:13], v[34:35] op_sel:[0,1] op_sel_hi:[1,0] neg_lo:[0,1] neg_hi:[0,1]
	v_pk_add_f32 v[2:3], v[2:3], v[16:17]
	v_pk_add_f32 v[0:1], v[0:1], v[24:25] op_sel:[0,1] op_sel_hi:[1,0]
	v_pk_add_f32 v[14:15], v[18:19], v[24:25] op_sel:[0,1] op_sel_hi:[1,0] neg_lo:[0,1] neg_hi:[0,1]
	v_mov_b32_e32 v16, v12
	v_mov_b32_e32 v17, v7
	v_pk_add_f32 v[30:31], v[30:31], v[32:33]
	v_mov_b32_e32 v18, v14
	v_mov_b32_e32 v19, v1
	;; [unrolled: 1-line block ×4, first 2 shown]
	v_pk_fma_f32 v[12:13], v[4:5], s[2:3], v[16:17] op_sel_hi:[1,0,1]
	v_pk_fma_f32 v[14:15], v[30:31], s[2:3], v[18:19] op_sel_hi:[1,0,1]
	v_pk_fma_f32 v[0:1], v[30:31], s[2:3], v[0:1] op_sel_hi:[1,0,1]
	v_pk_fma_f32 v[4:5], v[4:5], s[2:3], v[6:7] op_sel_hi:[1,0,1]
	ds_write2_b64 v9, v[2:3], v[12:13] offset1:66
	ds_write2_b64 v9, v[14:15], v[0:1] offset0:132 offset1:198
	ds_write_b64 v9, v[4:5] offset:2112
.LBB0_21:
	s_or_b64 exec, exec, s[10:11]
	v_mul_u32_u24_e32 v0, 3, v22
	v_lshlrev_b32_e32 v4, 3, v0
	s_waitcnt lgkmcnt(0)
	s_barrier
	global_load_dwordx2 v[24:25], v4, s[4:5] offset:2568
	global_load_dwordx4 v[0:3], v4, s[4:5] offset:2552
	v_mul_u32_u24_e32 v4, 3, v10
	v_lshlrev_b32_e32 v9, 3, v4
	global_load_dwordx4 v[4:7], v9, s[4:5] offset:2552
	global_load_dwordx2 v[26:27], v9, s[4:5] offset:2568
	v_add_u32_e32 v9, 0xe00, v100
	v_add_u32_e32 v16, 0x2400, v100
	ds_read_b64 v[30:31], v100
	v_add_u32_e32 v11, 0x1800, v100
	ds_read_b64 v[32:33], v28
	ds_read_b64 v[34:35], v29
	ds_read2_b64 v[12:15], v9 offset0:47 offset1:212
	ds_read2_b32 v[36:37], v16 offset0:6 offset1:7
	ds_read2_b64 v[16:19], v11 offset0:57 offset1:222
	s_waitcnt lgkmcnt(0)
	s_barrier
	v_mov_b32_e32 v38, v37
	s_add_u32 s2, s4, 0x28e8
	s_addc_u32 s3, s5, 0
	v_cmp_ne_u32_e32 vcc, 0, v22
	s_waitcnt vmcnt(3)
	v_pk_mul_f32 v[44:45], v[24:25], v[18:19] op_sel:[0,1]
	s_waitcnt vmcnt(2)
	v_pk_mul_f32 v[40:41], v[0:1], v[32:33] op_sel:[0,1]
	v_pk_mul_f32 v[42:43], v[2:3], v[14:15] op_sel:[0,1]
	s_waitcnt vmcnt(1)
	v_pk_mul_f32 v[46:47], v[4:5], v[12:13] op_sel:[0,1]
	v_pk_mul_f32 v[48:49], v[6:7], v[16:17] op_sel:[0,1]
	s_waitcnt vmcnt(0)
	v_pk_mul_f32 v[38:39], v[38:39], v[26:27] op_sel_hi:[0,1]
	v_pk_fma_f32 v[50:51], v[0:1], v[32:33], v[40:41] op_sel:[0,0,1] op_sel_hi:[1,1,0]
	v_pk_fma_f32 v[0:1], v[0:1], v[32:33], v[40:41] op_sel:[0,0,1] op_sel_hi:[1,0,0] neg_lo:[1,0,0] neg_hi:[1,0,0]
	v_pk_fma_f32 v[32:33], v[2:3], v[14:15], v[42:43] op_sel:[0,0,1] op_sel_hi:[1,1,0]
	v_pk_fma_f32 v[2:3], v[2:3], v[14:15], v[42:43] op_sel:[0,0,1] op_sel_hi:[1,0,0] neg_lo:[1,0,0] neg_hi:[1,0,0]
	;; [unrolled: 2-line block ×6, first 2 shown]
	v_mov_b32_e32 v25, v5
	v_mov_b32_e32 v13, v7
	;; [unrolled: 1-line block ×6, first 2 shown]
	v_pk_add_f32 v[4:5], v[34:35], v[12:13] neg_lo:[0,1] neg_hi:[0,1]
	v_pk_add_f32 v[6:7], v[24:25], v[16:17] neg_lo:[0,1] neg_hi:[0,1]
	;; [unrolled: 1-line block ×4, first 2 shown]
	v_pk_fma_f32 v[16:17], v[34:35], 2.0, v[4:5] op_sel_hi:[1,0,1] neg_lo:[0,0,1] neg_hi:[0,0,1]
	v_pk_fma_f32 v[18:19], v[24:25], 2.0, v[6:7] op_sel_hi:[1,0,1] neg_lo:[0,0,1] neg_hi:[0,0,1]
	;; [unrolled: 1-line block ×4, first 2 shown]
	v_pk_add_f32 v[24:25], v[0:1], v[2:3] op_sel:[0,1] op_sel_hi:[1,0]
	v_pk_add_f32 v[2:3], v[0:1], v[2:3] op_sel:[0,1] op_sel_hi:[1,0] neg_lo:[0,1] neg_hi:[0,1]
	v_pk_add_f32 v[26:27], v[4:5], v[6:7] op_sel:[0,1] op_sel_hi:[1,0]
	v_pk_add_f32 v[6:7], v[4:5], v[6:7] op_sel:[0,1] op_sel_hi:[1,0] neg_lo:[0,1] neg_hi:[0,1]
	v_pk_add_f32 v[18:19], v[16:17], v[18:19] neg_lo:[0,1] neg_hi:[0,1]
	v_pk_add_f32 v[14:15], v[12:13], v[14:15] neg_lo:[0,1] neg_hi:[0,1]
	v_mov_b32_e32 v25, v3
	v_mov_b32_e32 v27, v7
	v_pk_fma_f32 v[6:7], v[16:17], 2.0, v[18:19] op_sel_hi:[1,0,1] neg_lo:[0,0,1] neg_hi:[0,0,1]
	v_pk_fma_f32 v[2:3], v[12:13], 2.0, v[14:15] op_sel_hi:[1,0,1] neg_lo:[0,0,1] neg_hi:[0,0,1]
	;; [unrolled: 1-line block ×3, first 2 shown]
	ds_write_b64 v100, v[14:15] offset:5280
	ds_write_b64 v100, v[24:25] offset:7920
	v_pk_fma_f32 v[4:5], v[4:5], 2.0, v[26:27] op_sel_hi:[1,0,1] neg_lo:[0,0,1] neg_hi:[0,0,1]
	ds_write_b64 v29, v[18:19] offset:5280
	ds_write_b64 v29, v[26:27] offset:7920
	ds_write_b64 v100, v[2:3]
	ds_write_b64 v100, v[0:1] offset:2640
	ds_write_b64 v29, v[6:7]
	ds_write_b64 v29, v[4:5] offset:2640
	s_waitcnt lgkmcnt(0)
	s_barrier
	ds_read_b64 v[6:7], v100
	v_lshlrev_b32_e32 v0, 3, v22
	v_sub_u32_e32 v12, 0, v0
                                        ; implicit-def: $vgpr5
                                        ; implicit-def: $vgpr2_vgpr3
                                        ; implicit-def: $vgpr0_vgpr1
	s_and_saveexec_b64 s[4:5], vcc
	s_xor_b64 s[4:5], exec, s[4:5]
	s_cbranch_execz .LBB0_23
; %bb.22:
	v_mov_b32_e32 v23, 0
	v_lshl_add_u64 v[0:1], v[22:23], 3, s[2:3]
	global_load_dwordx2 v[0:1], v[0:1], off
	ds_read_b64 v[2:3], v12 offset:10560
	v_mov_b32_e32 v5, 0.5
	v_mov_b32_e32 v14, v5
	s_waitcnt lgkmcnt(0)
	v_pk_add_f32 v[16:17], v[2:3], v[6:7]
	v_pk_add_f32 v[2:3], v[6:7], v[2:3] neg_lo:[0,1] neg_hi:[0,1]
	v_mov_b32_e32 v6, v17
	v_mov_b32_e32 v7, v2
	v_pk_mul_f32 v[6:7], v[6:7], 0.5 op_sel_hi:[1,0]
	s_waitcnt vmcnt(0)
	v_mov_b32_e32 v4, v1
	v_mov_b32_e32 v2, v7
	v_mov_b32_e32 v17, v6
	v_mov_b32_e32 v15, v1
	v_pk_mul_f32 v[2:3], v[4:5], v[2:3]
	v_pk_mul_f32 v[18:19], v[0:1], v[6:7] op_sel_hi:[0,1]
	v_pk_fma_f32 v[24:25], v[16:17], v[14:15], v[2:3]
	v_pk_fma_f32 v[2:3], v[16:17], v[14:15], v[2:3] neg_lo:[0,0,1] neg_hi:[0,0,1]
	v_pk_fma_f32 v[4:5], v[0:1], v[6:7], v[24:25] op_sel_hi:[0,1,1] neg_lo:[1,0,0] neg_hi:[1,0,0]
	v_pk_fma_f32 v[2:3], v[0:1], v[6:7], v[2:3] op_sel_hi:[0,1,1] neg_lo:[1,0,0] neg_hi:[1,0,0]
	v_add_f32_e32 v4, v24, v18
	v_mov_b64_e32 v[0:1], v[22:23]
                                        ; implicit-def: $vgpr6_vgpr7
.LBB0_23:
	s_andn2_saveexec_b64 s[4:5], s[4:5]
	s_cbranch_execz .LBB0_25
; %bb.24:
	s_waitcnt lgkmcnt(0)
	v_mov_b32_e32 v0, v7
	v_pk_add_f32 v[2:3], v[6:7], v[0:1] neg_lo:[0,1] neg_hi:[0,1]
	v_add_f32_e32 v4, v7, v6
	v_mov_b32_e32 v3, 0
	ds_read_b32 v5, v3 offset:5284
	v_mov_b64_e32 v[0:1], 0
	s_waitcnt lgkmcnt(0)
	v_xor_b32_e32 v5, 0x80000000, v5
	ds_write_b32 v3, v5 offset:5284
	v_mov_b32_e32 v5, v3
.LBB0_25:
	s_or_b64 exec, exec, s[4:5]
	v_mov_b32_e32 v11, 0
	s_waitcnt lgkmcnt(0)
	v_lshl_add_u64 v[6:7], v[10:11], 3, s[2:3]
	global_load_dwordx2 v[6:7], v[6:7], off
	v_mov_b32_e32 v9, v11
	v_lshl_add_u64 v[8:9], v[8:9], 3, s[2:3]
	global_load_dwordx2 v[8:9], v[8:9], off
	v_lshl_add_u64 v[10:11], v[0:1], 3, s[2:3]
	global_load_dwordx2 v[10:11], v[10:11], off offset:3960
	ds_write_b64 v100, v[4:5]
	ds_write_b64 v12, v[2:3] offset:10560
	ds_read_b64 v[2:3], v29
	ds_read_b64 v[4:5], v12 offset:9240
	v_mov_b32_e32 v15, 0.5
	v_mov_b32_e32 v16, v15
	s_waitcnt lgkmcnt(0)
	v_pk_add_f32 v[18:19], v[2:3], v[4:5]
	v_pk_add_f32 v[2:3], v[2:3], v[4:5] neg_lo:[0,1] neg_hi:[0,1]
	v_mov_b32_e32 v4, v19
	v_mov_b32_e32 v5, v2
	v_pk_mul_f32 v[4:5], v[4:5], 0.5 op_sel_hi:[1,0]
	s_waitcnt vmcnt(2)
	v_mov_b32_e32 v17, v7
	v_mov_b32_e32 v19, v4
	;; [unrolled: 1-line block ×4, first 2 shown]
	v_pk_mul_f32 v[16:17], v[18:19], v[16:17]
	s_nop 0
	v_pk_fma_f32 v[18:19], v[14:15], v[2:3], v[16:17] neg_lo:[1,0,0] neg_hi:[1,0,0]
	v_pk_fma_f32 v[2:3], v[14:15], v[2:3], v[16:17]
	v_pk_fma_f32 v[16:17], v[6:7], v[4:5], v[18:19] op_sel_hi:[0,1,1] neg_lo:[1,0,0] neg_hi:[1,0,0]
	v_pk_fma_f32 v[18:19], v[6:7], v[4:5], v[2:3] op_sel_hi:[0,1,1]
	v_pk_fma_f32 v[2:3], v[6:7], v[4:5], v[2:3] op_sel_hi:[0,1,1] neg_lo:[1,0,0] neg_hi:[1,0,0]
	v_mov_b32_e32 v19, v3
	ds_write_b64 v29, v[18:19]
	ds_write_b64 v12, v[16:17] offset:9240
	ds_read_b64 v[2:3], v28
	ds_read_b64 v[4:5], v12 offset:7920
	v_mov_b32_e32 v6, v15
	s_waitcnt vmcnt(1)
	v_mov_b32_e32 v7, v9
	v_mov_b32_e32 v14, v9
	s_waitcnt lgkmcnt(0)
	v_pk_add_f32 v[16:17], v[2:3], v[4:5]
	v_pk_add_f32 v[2:3], v[2:3], v[4:5] neg_lo:[0,1] neg_hi:[0,1]
	v_mov_b32_e32 v4, v17
	v_mov_b32_e32 v5, v2
	v_pk_mul_f32 v[4:5], v[4:5], 0.5 op_sel_hi:[1,0]
	s_nop 0
	v_mov_b32_e32 v17, v4
	v_mov_b32_e32 v2, v5
	v_pk_mul_f32 v[6:7], v[16:17], v[6:7]
	s_nop 0
	v_pk_fma_f32 v[16:17], v[14:15], v[2:3], v[6:7] neg_lo:[1,0,0] neg_hi:[1,0,0]
	v_pk_fma_f32 v[2:3], v[14:15], v[2:3], v[6:7]
	v_pk_fma_f32 v[6:7], v[8:9], v[4:5], v[16:17] op_sel_hi:[0,1,1] neg_lo:[1,0,0] neg_hi:[1,0,0]
	v_pk_fma_f32 v[16:17], v[8:9], v[4:5], v[2:3] op_sel_hi:[0,1,1]
	v_pk_fma_f32 v[2:3], v[8:9], v[4:5], v[2:3] op_sel_hi:[0,1,1] neg_lo:[1,0,0] neg_hi:[1,0,0]
	v_mov_b32_e32 v17, v3
	ds_write_b64 v28, v[16:17]
	ds_write_b64 v12, v[6:7] offset:7920
	ds_read_b64 v[2:3], v100 offset:3960
	ds_read_b64 v[4:5], v12 offset:6600
	v_mov_b32_e32 v6, v15
	s_waitcnt vmcnt(0)
	v_mov_b32_e32 v7, v11
	v_mov_b32_e32 v14, v11
	s_waitcnt lgkmcnt(0)
	v_pk_add_f32 v[8:9], v[2:3], v[4:5]
	v_pk_add_f32 v[2:3], v[2:3], v[4:5] neg_lo:[0,1] neg_hi:[0,1]
	v_mov_b32_e32 v4, v9
	v_mov_b32_e32 v5, v2
	v_pk_mul_f32 v[4:5], v[4:5], 0.5 op_sel_hi:[1,0]
	s_nop 0
	v_mov_b32_e32 v9, v4
	v_mov_b32_e32 v2, v5
	v_pk_mul_f32 v[6:7], v[8:9], v[6:7]
	s_nop 0
	v_pk_fma_f32 v[8:9], v[14:15], v[2:3], v[6:7] neg_lo:[1,0,0] neg_hi:[1,0,0]
	v_pk_fma_f32 v[2:3], v[14:15], v[2:3], v[6:7]
	v_pk_fma_f32 v[6:7], v[10:11], v[4:5], v[8:9] op_sel_hi:[0,1,1] neg_lo:[1,0,0] neg_hi:[1,0,0]
	v_pk_fma_f32 v[8:9], v[10:11], v[4:5], v[2:3] op_sel_hi:[0,1,1]
	v_pk_fma_f32 v[2:3], v[10:11], v[4:5], v[2:3] op_sel_hi:[0,1,1] neg_lo:[1,0,0] neg_hi:[1,0,0]
	v_mov_b32_e32 v9, v3
	ds_write_b64 v100, v[8:9] offset:3960
	ds_write_b64 v12, v[6:7] offset:6600
	s_waitcnt lgkmcnt(0)
	s_barrier
	s_and_saveexec_b64 s[2:3], s[0:1]
	s_cbranch_execz .LBB0_28
; %bb.26:
	ds_read2_b64 v[2:5], v100 offset1:165
	v_add_u32_e32 v6, 0x800, v100
	ds_read2_b64 v[6:9], v6 offset0:74 offset1:239
	v_lshl_add_u64 v[10:11], v[0:1], 3, v[20:21]
	v_add_u32_e32 v0, 0x1400, v100
	s_waitcnt lgkmcnt(1)
	global_store_dwordx2 v[10:11], v[2:3], off
	global_store_dwordx2 v[10:11], v[4:5], off offset:1320
	s_waitcnt lgkmcnt(0)
	global_store_dwordx2 v[10:11], v[6:7], off offset:2640
	global_store_dwordx2 v[10:11], v[8:9], off offset:3960
	ds_read2_b64 v[0:3], v0 offset0:20 offset1:185
	v_add_u32_e32 v4, 0x1e00, v100
	ds_read2_b64 v[4:7], v4 offset0:30 offset1:195
	v_add_co_u32_e32 v8, vcc, 0x1000, v10
	s_movk_i32 s0, 0xa4
	s_nop 0
	v_addc_co_u32_e32 v9, vcc, 0, v11, vcc
	s_waitcnt lgkmcnt(1)
	global_store_dwordx2 v[8:9], v[0:1], off offset:1184
	global_store_dwordx2 v[8:9], v[2:3], off offset:2504
	s_waitcnt lgkmcnt(0)
	global_store_dwordx2 v[8:9], v[4:5], off offset:3824
	v_add_co_u32_e32 v0, vcc, 0x2000, v10
	s_nop 1
	v_addc_co_u32_e32 v1, vcc, 0, v11, vcc
	v_cmp_eq_u32_e32 vcc, s0, v22
	global_store_dwordx2 v[0:1], v[6:7], off offset:1048
	s_and_b64 exec, exec, vcc
	s_cbranch_execz .LBB0_28
; %bb.27:
	v_mov_b32_e32 v0, 0
	ds_read_b64 v[0:1], v0 offset:10560
	v_add_co_u32_e32 v2, vcc, 0x2000, v20
	s_nop 1
	v_addc_co_u32_e32 v3, vcc, 0, v21, vcc
	s_waitcnt lgkmcnt(0)
	global_store_dwordx2 v[2:3], v[0:1], off offset:2368
.LBB0_28:
	s_endpgm
	.section	.rodata,"a",@progbits
	.p2align	6, 0x0
	.amdhsa_kernel fft_rtc_back_len1320_factors_11_2_3_5_4_wgs_165_tpt_165_sp_ip_CI_unitstride_sbrr_R2C_dirReg
		.amdhsa_group_segment_fixed_size 0
		.amdhsa_private_segment_fixed_size 0
		.amdhsa_kernarg_size 88
		.amdhsa_user_sgpr_count 2
		.amdhsa_user_sgpr_dispatch_ptr 0
		.amdhsa_user_sgpr_queue_ptr 0
		.amdhsa_user_sgpr_kernarg_segment_ptr 1
		.amdhsa_user_sgpr_dispatch_id 0
		.amdhsa_user_sgpr_kernarg_preload_length 0
		.amdhsa_user_sgpr_kernarg_preload_offset 0
		.amdhsa_user_sgpr_private_segment_size 0
		.amdhsa_uses_dynamic_stack 0
		.amdhsa_enable_private_segment 0
		.amdhsa_system_sgpr_workgroup_id_x 1
		.amdhsa_system_sgpr_workgroup_id_y 0
		.amdhsa_system_sgpr_workgroup_id_z 0
		.amdhsa_system_sgpr_workgroup_info 0
		.amdhsa_system_vgpr_workitem_id 0
		.amdhsa_next_free_vgpr 108
		.amdhsa_next_free_sgpr 30
		.amdhsa_accum_offset 108
		.amdhsa_reserve_vcc 1
		.amdhsa_float_round_mode_32 0
		.amdhsa_float_round_mode_16_64 0
		.amdhsa_float_denorm_mode_32 3
		.amdhsa_float_denorm_mode_16_64 3
		.amdhsa_dx10_clamp 1
		.amdhsa_ieee_mode 1
		.amdhsa_fp16_overflow 0
		.amdhsa_tg_split 0
		.amdhsa_exception_fp_ieee_invalid_op 0
		.amdhsa_exception_fp_denorm_src 0
		.amdhsa_exception_fp_ieee_div_zero 0
		.amdhsa_exception_fp_ieee_overflow 0
		.amdhsa_exception_fp_ieee_underflow 0
		.amdhsa_exception_fp_ieee_inexact 0
		.amdhsa_exception_int_div_zero 0
	.end_amdhsa_kernel
	.text
.Lfunc_end0:
	.size	fft_rtc_back_len1320_factors_11_2_3_5_4_wgs_165_tpt_165_sp_ip_CI_unitstride_sbrr_R2C_dirReg, .Lfunc_end0-fft_rtc_back_len1320_factors_11_2_3_5_4_wgs_165_tpt_165_sp_ip_CI_unitstride_sbrr_R2C_dirReg
                                        ; -- End function
	.section	.AMDGPU.csdata,"",@progbits
; Kernel info:
; codeLenInByte = 7628
; NumSgprs: 36
; NumVgprs: 108
; NumAgprs: 0
; TotalNumVgprs: 108
; ScratchSize: 0
; MemoryBound: 0
; FloatMode: 240
; IeeeMode: 1
; LDSByteSize: 0 bytes/workgroup (compile time only)
; SGPRBlocks: 4
; VGPRBlocks: 13
; NumSGPRsForWavesPerEU: 36
; NumVGPRsForWavesPerEU: 108
; AccumOffset: 108
; Occupancy: 4
; WaveLimiterHint : 1
; COMPUTE_PGM_RSRC2:SCRATCH_EN: 0
; COMPUTE_PGM_RSRC2:USER_SGPR: 2
; COMPUTE_PGM_RSRC2:TRAP_HANDLER: 0
; COMPUTE_PGM_RSRC2:TGID_X_EN: 1
; COMPUTE_PGM_RSRC2:TGID_Y_EN: 0
; COMPUTE_PGM_RSRC2:TGID_Z_EN: 0
; COMPUTE_PGM_RSRC2:TIDIG_COMP_CNT: 0
; COMPUTE_PGM_RSRC3_GFX90A:ACCUM_OFFSET: 26
; COMPUTE_PGM_RSRC3_GFX90A:TG_SPLIT: 0
	.text
	.p2alignl 6, 3212836864
	.fill 256, 4, 3212836864
	.type	__hip_cuid_ae9850d49bdc8e03,@object ; @__hip_cuid_ae9850d49bdc8e03
	.section	.bss,"aw",@nobits
	.globl	__hip_cuid_ae9850d49bdc8e03
__hip_cuid_ae9850d49bdc8e03:
	.byte	0                               ; 0x0
	.size	__hip_cuid_ae9850d49bdc8e03, 1

	.ident	"AMD clang version 19.0.0git (https://github.com/RadeonOpenCompute/llvm-project roc-6.4.0 25133 c7fe45cf4b819c5991fe208aaa96edf142730f1d)"
	.section	".note.GNU-stack","",@progbits
	.addrsig
	.addrsig_sym __hip_cuid_ae9850d49bdc8e03
	.amdgpu_metadata
---
amdhsa.kernels:
  - .agpr_count:     0
    .args:
      - .actual_access:  read_only
        .address_space:  global
        .offset:         0
        .size:           8
        .value_kind:     global_buffer
      - .offset:         8
        .size:           8
        .value_kind:     by_value
      - .actual_access:  read_only
        .address_space:  global
        .offset:         16
        .size:           8
        .value_kind:     global_buffer
      - .actual_access:  read_only
        .address_space:  global
        .offset:         24
        .size:           8
        .value_kind:     global_buffer
      - .offset:         32
        .size:           8
        .value_kind:     by_value
      - .actual_access:  read_only
        .address_space:  global
        .offset:         40
        .size:           8
        .value_kind:     global_buffer
      - .actual_access:  read_only
        .address_space:  global
        .offset:         48
        .size:           8
        .value_kind:     global_buffer
      - .offset:         56
        .size:           4
        .value_kind:     by_value
      - .actual_access:  read_only
        .address_space:  global
        .offset:         64
        .size:           8
        .value_kind:     global_buffer
      - .actual_access:  read_only
        .address_space:  global
        .offset:         72
        .size:           8
        .value_kind:     global_buffer
      - .address_space:  global
        .offset:         80
        .size:           8
        .value_kind:     global_buffer
    .group_segment_fixed_size: 0
    .kernarg_segment_align: 8
    .kernarg_segment_size: 88
    .language:       OpenCL C
    .language_version:
      - 2
      - 0
    .max_flat_workgroup_size: 165
    .name:           fft_rtc_back_len1320_factors_11_2_3_5_4_wgs_165_tpt_165_sp_ip_CI_unitstride_sbrr_R2C_dirReg
    .private_segment_fixed_size: 0
    .sgpr_count:     36
    .sgpr_spill_count: 0
    .symbol:         fft_rtc_back_len1320_factors_11_2_3_5_4_wgs_165_tpt_165_sp_ip_CI_unitstride_sbrr_R2C_dirReg.kd
    .uniform_work_group_size: 1
    .uses_dynamic_stack: false
    .vgpr_count:     108
    .vgpr_spill_count: 0
    .wavefront_size: 64
amdhsa.target:   amdgcn-amd-amdhsa--gfx950
amdhsa.version:
  - 1
  - 2
...

	.end_amdgpu_metadata
